;; amdgpu-corpus repo=zjin-lcf/HeCBench kind=compiled arch=gfx1250 opt=O3
	.amdgcn_target "amdgcn-amd-amdhsa--gfx1250"
	.amdhsa_code_object_version 6
	.text
	.protected	_Z6kernelPdS_PKdS1_ii   ; -- Begin function _Z6kernelPdS_PKdS1_ii
	.globl	_Z6kernelPdS_PKdS1_ii
	.p2align	8
	.type	_Z6kernelPdS_PKdS1_ii,@function
_Z6kernelPdS_PKdS1_ii:                  ; @_Z6kernelPdS_PKdS1_ii
; %bb.0:
	s_clause 0x1
	s_load_b32 s2, s[0:1], 0x34
	s_load_b64 s[8:9], s[0:1], 0x20
	s_bfe_u32 s3, ttmp6, 0x4000c
	s_and_b32 s4, ttmp6, 15
	s_add_co_i32 s3, s3, 1
	s_getreg_b32 s5, hwreg(HW_REG_IB_STS2, 6, 4)
	s_mul_i32 s3, ttmp9, s3
	s_delay_alu instid0(SALU_CYCLE_1) | instskip(SKIP_4) | instid1(SALU_CYCLE_1)
	s_add_co_i32 s4, s4, s3
	s_wait_kmcnt 0x0
	s_and_b32 s2, s2, 0xffff
	s_cmp_eq_u32 s5, 0
	s_cselect_b32 s3, ttmp9, s4
	v_mad_u32 v2, s3, s2, v0
	s_mov_b32 s2, exec_lo
	s_delay_alu instid0(VALU_DEP_1)
	v_cmpx_gt_i32_e64 s9, v2
	s_cbranch_execz .LBB0_13
; %bb.1:
	s_load_b64 s[2:3], s[0:1], 0x0
	s_cmp_lt_i32 s8, 1
	s_cbranch_scc1 .LBB0_8
; %bb.2:
	s_clause 0x1
	s_load_b128 s[4:7], s[0:1], 0x8
	s_load_b64 s[10:11], s[0:1], 0x18
	v_ashrrev_i32_e32 v3, 31, v2
	v_mov_b64_e32 v[0:1], 0
	v_mov_b64_e32 v[4:5], 1.0
	s_wait_xcnt 0x0
	s_mov_b32 s1, 0
	s_delay_alu instid0(SALU_CYCLE_1)
	s_mov_b32 s0, s1
	s_wait_kmcnt 0x0
	v_lshl_add_u64 v[6:7], v[2:3], 3, s[6:7]
	s_branch .LBB0_4
.LBB0_3:                                ;   in Loop: Header=BB0_4 Depth=1
	v_add_f64_e64 v[0:1], v[0:1], |v[10:11]|
	s_add_co_i32 s0, s0, 1
	s_delay_alu instid0(SALU_CYCLE_1)
	s_cmp_eq_u32 s0, s8
	s_cbranch_scc1 .LBB0_9
.LBB0_4:                                ; =>This Loop Header: Depth=1
                                        ;     Child Loop BB0_6 Depth 2
	s_wait_xcnt 0x0
	v_mad_u32 v12, s0, s9, v2
	v_mov_b64_e32 v[10:11], 1.0
	s_lshl_b64 s[6:7], s[0:1], 3
	s_mov_b64 s[12:13], s[10:11]
	s_add_nc_u64 s[6:7], s[10:11], s[6:7]
	s_mov_b32 s14, 0
	s_delay_alu instid0(VALU_DEP_2)
	v_ashrrev_i32_e32 v13, 31, v12
	global_store_b64 v12, v[4:5], s[4:5] scale_offset
	v_lshl_add_u64 v[8:9], v[12:13], 3, s[4:5]
	s_branch .LBB0_6
.LBB0_5:                                ;   in Loop: Header=BB0_6 Depth=2
	s_add_co_i32 s14, s14, 1
	s_add_nc_u64 s[12:13], s[12:13], 8
	s_cmp_eq_u32 s8, s14
	s_cbranch_scc1 .LBB0_3
.LBB0_6:                                ;   Parent Loop BB0_4 Depth=1
                                        ; =>  This Inner Loop Header: Depth=2
	s_cmp_eq_u32 s0, s14
	s_cbranch_scc1 .LBB0_5
; %bb.7:                                ;   in Loop: Header=BB0_6 Depth=2
	global_load_b64 v[12:13], v[6:7], off
	s_load_b64 s[16:17], s[12:13], 0x0
	s_load_b64 s[18:19], s[6:7], 0x0
	s_wait_kmcnt 0x0
	v_add_f64_e64 v[14:15], s[18:19], -s[16:17]
	s_wait_loadcnt 0x0
	v_add_f64_e64 v[12:13], v[12:13], -s[16:17]
	s_delay_alu instid0(VALU_DEP_1) | instskip(NEXT) | instid1(VALU_DEP_1)
	v_mul_f64_e32 v[10:11], v[10:11], v[12:13]
	v_div_scale_f64 v[12:13], null, v[14:15], v[14:15], v[10:11]
	s_delay_alu instid0(VALU_DEP_1) | instskip(SKIP_1) | instid1(TRANS32_DEP_1)
	v_rcp_f64_e32 v[16:17], v[12:13]
	v_nop
	v_fma_f64 v[18:19], -v[12:13], v[16:17], 1.0
	s_delay_alu instid0(VALU_DEP_1) | instskip(NEXT) | instid1(VALU_DEP_1)
	v_fmac_f64_e32 v[16:17], v[16:17], v[18:19]
	v_fma_f64 v[18:19], -v[12:13], v[16:17], 1.0
	s_delay_alu instid0(VALU_DEP_1) | instskip(SKIP_1) | instid1(VALU_DEP_1)
	v_fmac_f64_e32 v[16:17], v[16:17], v[18:19]
	v_div_scale_f64 v[18:19], vcc_lo, v[10:11], v[14:15], v[10:11]
	v_mul_f64_e32 v[20:21], v[18:19], v[16:17]
	s_delay_alu instid0(VALU_DEP_1) | instskip(NEXT) | instid1(VALU_DEP_1)
	v_fma_f64 v[12:13], -v[12:13], v[20:21], v[18:19]
	v_div_fmas_f64 v[12:13], v[12:13], v[16:17], v[20:21]
	s_delay_alu instid0(VALU_DEP_1)
	v_div_fixup_f64 v[10:11], v[12:13], v[14:15], v[10:11]
	global_store_b64 v[8:9], v[10:11], off
	s_branch .LBB0_5
.LBB0_8:
	v_mov_b64_e32 v[0:1], 0
.LBB0_9:
	v_mov_b64_e32 v[2:3], 0x7ff8000000000000
	s_wait_xcnt 0x0
	s_mov_b32 s0, exec_lo
.LBB0_10:                               ; =>This Inner Loop Header: Depth=1
	s_delay_alu instid0(SALU_CYCLE_1) | instskip(NEXT) | instid1(VALU_DEP_1)
	s_ctz_i32_b32 s1, s0
	v_max_num_f64_e32 v[2:3], v[2:3], v[2:3]
	s_delay_alu instid0(VALU_DEP_3) | instskip(NEXT) | instid1(VALU_DEP_4)
	v_readlane_b32 s5, v1, s1
	v_readlane_b32 s4, v0, s1
	s_lshl_b32 s1, 1, s1
	s_delay_alu instid0(SALU_CYCLE_1) | instskip(SKIP_2) | instid1(VALU_DEP_1)
	s_and_not1_b32 s0, s0, s1
	v_max_num_f64_e64 v[4:5], s[4:5], s[4:5]
	s_cmp_lg_u32 s0, 0
	v_max_num_f64_e32 v[2:3], v[2:3], v[4:5]
	s_cbranch_scc1 .LBB0_10
; %bb.11:
	v_mbcnt_lo_u32_b32 v0, exec_lo, 0
	s_mov_b32 s0, exec_lo
	s_delay_alu instid0(VALU_DEP_1)
	v_cmpx_eq_u32_e32 0, v0
	s_xor_b32 s0, exec_lo, s0
	s_cbranch_execz .LBB0_13
; %bb.12:
	v_mov_b32_e32 v0, 0
	s_wait_kmcnt 0x0
	global_atomic_max_num_f64 v0, v[2:3], s[2:3] scope:SCOPE_DEV
.LBB0_13:
	s_endpgm
	.section	.rodata,"a",@progbits
	.p2align	6, 0x0
	.amdhsa_kernel _Z6kernelPdS_PKdS1_ii
		.amdhsa_group_segment_fixed_size 0
		.amdhsa_private_segment_fixed_size 0
		.amdhsa_kernarg_size 296
		.amdhsa_user_sgpr_count 2
		.amdhsa_user_sgpr_dispatch_ptr 0
		.amdhsa_user_sgpr_queue_ptr 0
		.amdhsa_user_sgpr_kernarg_segment_ptr 1
		.amdhsa_user_sgpr_dispatch_id 0
		.amdhsa_user_sgpr_kernarg_preload_length 0
		.amdhsa_user_sgpr_kernarg_preload_offset 0
		.amdhsa_user_sgpr_private_segment_size 0
		.amdhsa_wavefront_size32 1
		.amdhsa_uses_dynamic_stack 0
		.amdhsa_enable_private_segment 0
		.amdhsa_system_sgpr_workgroup_id_x 1
		.amdhsa_system_sgpr_workgroup_id_y 0
		.amdhsa_system_sgpr_workgroup_id_z 0
		.amdhsa_system_sgpr_workgroup_info 0
		.amdhsa_system_vgpr_workitem_id 0
		.amdhsa_next_free_vgpr 22
		.amdhsa_next_free_sgpr 20
		.amdhsa_named_barrier_count 0
		.amdhsa_reserve_vcc 1
		.amdhsa_float_round_mode_32 0
		.amdhsa_float_round_mode_16_64 0
		.amdhsa_float_denorm_mode_32 3
		.amdhsa_float_denorm_mode_16_64 3
		.amdhsa_fp16_overflow 0
		.amdhsa_memory_ordered 1
		.amdhsa_forward_progress 1
		.amdhsa_inst_pref_size 5
		.amdhsa_round_robin_scheduling 0
		.amdhsa_exception_fp_ieee_invalid_op 0
		.amdhsa_exception_fp_denorm_src 0
		.amdhsa_exception_fp_ieee_div_zero 0
		.amdhsa_exception_fp_ieee_overflow 0
		.amdhsa_exception_fp_ieee_underflow 0
		.amdhsa_exception_fp_ieee_inexact 0
		.amdhsa_exception_int_div_zero 0
	.end_amdhsa_kernel
	.text
.Lfunc_end0:
	.size	_Z6kernelPdS_PKdS1_ii, .Lfunc_end0-_Z6kernelPdS_PKdS1_ii
                                        ; -- End function
	.set _Z6kernelPdS_PKdS1_ii.num_vgpr, 22
	.set _Z6kernelPdS_PKdS1_ii.num_agpr, 0
	.set _Z6kernelPdS_PKdS1_ii.numbered_sgpr, 20
	.set _Z6kernelPdS_PKdS1_ii.num_named_barrier, 0
	.set _Z6kernelPdS_PKdS1_ii.private_seg_size, 0
	.set _Z6kernelPdS_PKdS1_ii.uses_vcc, 1
	.set _Z6kernelPdS_PKdS1_ii.uses_flat_scratch, 0
	.set _Z6kernelPdS_PKdS1_ii.has_dyn_sized_stack, 0
	.set _Z6kernelPdS_PKdS1_ii.has_recursion, 0
	.set _Z6kernelPdS_PKdS1_ii.has_indirect_call, 0
	.section	.AMDGPU.csdata,"",@progbits
; Kernel info:
; codeLenInByte = 604
; TotalNumSgprs: 22
; NumVgprs: 22
; ScratchSize: 0
; MemoryBound: 1
; FloatMode: 240
; IeeeMode: 1
; LDSByteSize: 0 bytes/workgroup (compile time only)
; SGPRBlocks: 0
; VGPRBlocks: 1
; NumSGPRsForWavesPerEU: 22
; NumVGPRsForWavesPerEU: 22
; NamedBarCnt: 0
; Occupancy: 16
; WaveLimiterHint : 0
; COMPUTE_PGM_RSRC2:SCRATCH_EN: 0
; COMPUTE_PGM_RSRC2:USER_SGPR: 2
; COMPUTE_PGM_RSRC2:TRAP_HANDLER: 0
; COMPUTE_PGM_RSRC2:TGID_X_EN: 1
; COMPUTE_PGM_RSRC2:TGID_Y_EN: 0
; COMPUTE_PGM_RSRC2:TGID_Z_EN: 0
; COMPUTE_PGM_RSRC2:TIDIG_COMP_CNT: 0
	.text
	.p2alignl 7, 3214868480
	.fill 96, 4, 3214868480
	.section	.AMDGPU.gpr_maximums,"",@progbits
	.set amdgpu.max_num_vgpr, 0
	.set amdgpu.max_num_agpr, 0
	.set amdgpu.max_num_sgpr, 0
	.text
	.type	__hip_cuid_4fe0f2bce197c13c,@object ; @__hip_cuid_4fe0f2bce197c13c
	.section	.bss,"aw",@nobits
	.globl	__hip_cuid_4fe0f2bce197c13c
__hip_cuid_4fe0f2bce197c13c:
	.byte	0                               ; 0x0
	.size	__hip_cuid_4fe0f2bce197c13c, 1

	.ident	"AMD clang version 22.0.0git (https://github.com/RadeonOpenCompute/llvm-project roc-7.2.4 26084 f58b06dce1f9c15707c5f808fd002e18c2accf7e)"
	.section	".note.GNU-stack","",@progbits
	.addrsig
	.addrsig_sym __hip_cuid_4fe0f2bce197c13c
	.amdgpu_metadata
---
amdhsa.kernels:
  - .args:
      - .address_space:  global
        .offset:         0
        .size:           8
        .value_kind:     global_buffer
      - .actual_access:  write_only
        .address_space:  global
        .offset:         8
        .size:           8
        .value_kind:     global_buffer
      - .actual_access:  read_only
        .address_space:  global
        .offset:         16
        .size:           8
        .value_kind:     global_buffer
      - .actual_access:  read_only
        .address_space:  global
        .offset:         24
        .size:           8
        .value_kind:     global_buffer
      - .offset:         32
        .size:           4
        .value_kind:     by_value
      - .offset:         36
        .size:           4
        .value_kind:     by_value
      - .offset:         40
        .size:           4
        .value_kind:     hidden_block_count_x
      - .offset:         44
        .size:           4
        .value_kind:     hidden_block_count_y
      - .offset:         48
        .size:           4
        .value_kind:     hidden_block_count_z
      - .offset:         52
        .size:           2
        .value_kind:     hidden_group_size_x
      - .offset:         54
        .size:           2
        .value_kind:     hidden_group_size_y
      - .offset:         56
        .size:           2
        .value_kind:     hidden_group_size_z
      - .offset:         58
        .size:           2
        .value_kind:     hidden_remainder_x
      - .offset:         60
        .size:           2
        .value_kind:     hidden_remainder_y
      - .offset:         62
        .size:           2
        .value_kind:     hidden_remainder_z
      - .offset:         80
        .size:           8
        .value_kind:     hidden_global_offset_x
      - .offset:         88
        .size:           8
        .value_kind:     hidden_global_offset_y
      - .offset:         96
        .size:           8
        .value_kind:     hidden_global_offset_z
      - .offset:         104
        .size:           2
        .value_kind:     hidden_grid_dims
    .group_segment_fixed_size: 0
    .kernarg_segment_align: 8
    .kernarg_segment_size: 296
    .language:       OpenCL C
    .language_version:
      - 2
      - 0
    .max_flat_workgroup_size: 1024
    .name:           _Z6kernelPdS_PKdS1_ii
    .private_segment_fixed_size: 0
    .sgpr_count:     22
    .sgpr_spill_count: 0
    .symbol:         _Z6kernelPdS_PKdS1_ii.kd
    .uniform_work_group_size: 1
    .uses_dynamic_stack: false
    .vgpr_count:     22
    .vgpr_spill_count: 0
    .wavefront_size: 32
amdhsa.target:   amdgcn-amd-amdhsa--gfx1250
amdhsa.version:
  - 1
  - 2
...

	.end_amdgpu_metadata
